;; amdgpu-corpus repo=ROCm/rocFFT kind=compiled arch=gfx906 opt=O3
	.text
	.amdgcn_target "amdgcn-amd-amdhsa--gfx906"
	.amdhsa_code_object_version 6
	.protected	fft_rtc_fwd_len1750_factors_2_5_5_7_5_wgs_175_tpt_175_halfLds_dp_op_CI_CI_unitstride_sbrr_R2C_dirReg ; -- Begin function fft_rtc_fwd_len1750_factors_2_5_5_7_5_wgs_175_tpt_175_halfLds_dp_op_CI_CI_unitstride_sbrr_R2C_dirReg
	.globl	fft_rtc_fwd_len1750_factors_2_5_5_7_5_wgs_175_tpt_175_halfLds_dp_op_CI_CI_unitstride_sbrr_R2C_dirReg
	.p2align	8
	.type	fft_rtc_fwd_len1750_factors_2_5_5_7_5_wgs_175_tpt_175_halfLds_dp_op_CI_CI_unitstride_sbrr_R2C_dirReg,@function
fft_rtc_fwd_len1750_factors_2_5_5_7_5_wgs_175_tpt_175_halfLds_dp_op_CI_CI_unitstride_sbrr_R2C_dirReg: ; @fft_rtc_fwd_len1750_factors_2_5_5_7_5_wgs_175_tpt_175_halfLds_dp_op_CI_CI_unitstride_sbrr_R2C_dirReg
; %bb.0:
	s_load_dwordx4 s[8:11], s[4:5], 0x58
	s_load_dwordx4 s[12:15], s[4:5], 0x0
	;; [unrolled: 1-line block ×3, first 2 shown]
	v_mul_u32_u24_e32 v1, 0x177, v0
	v_add_u32_sdwa v5, s6, v1 dst_sel:DWORD dst_unused:UNUSED_PAD src0_sel:DWORD src1_sel:WORD_1
	v_mov_b32_e32 v3, 0
	s_waitcnt lgkmcnt(0)
	v_cmp_lt_u64_e64 s[0:1], s[14:15], 2
	v_mov_b32_e32 v1, 0
	v_mov_b32_e32 v6, v3
	s_and_b64 vcc, exec, s[0:1]
	v_mov_b32_e32 v2, 0
	s_cbranch_vccnz .LBB0_8
; %bb.1:
	s_load_dwordx2 s[0:1], s[4:5], 0x10
	s_add_u32 s2, s18, 8
	s_addc_u32 s3, s19, 0
	s_add_u32 s6, s16, 8
	v_mov_b32_e32 v1, 0
	s_addc_u32 s7, s17, 0
	v_mov_b32_e32 v2, 0
	s_waitcnt lgkmcnt(0)
	s_add_u32 s20, s0, 8
	v_mov_b32_e32 v57, v2
	s_addc_u32 s21, s1, 0
	s_mov_b64 s[22:23], 1
	v_mov_b32_e32 v56, v1
.LBB0_2:                                ; =>This Inner Loop Header: Depth=1
	s_load_dwordx2 s[24:25], s[20:21], 0x0
                                        ; implicit-def: $vgpr58_vgpr59
	s_waitcnt lgkmcnt(0)
	v_or_b32_e32 v4, s25, v6
	v_cmp_ne_u64_e32 vcc, 0, v[3:4]
	s_and_saveexec_b64 s[0:1], vcc
	s_xor_b64 s[26:27], exec, s[0:1]
	s_cbranch_execz .LBB0_4
; %bb.3:                                ;   in Loop: Header=BB0_2 Depth=1
	v_cvt_f32_u32_e32 v4, s24
	v_cvt_f32_u32_e32 v7, s25
	s_sub_u32 s0, 0, s24
	s_subb_u32 s1, 0, s25
	v_mac_f32_e32 v4, 0x4f800000, v7
	v_rcp_f32_e32 v4, v4
	v_mul_f32_e32 v4, 0x5f7ffffc, v4
	v_mul_f32_e32 v7, 0x2f800000, v4
	v_trunc_f32_e32 v7, v7
	v_mac_f32_e32 v4, 0xcf800000, v7
	v_cvt_u32_f32_e32 v7, v7
	v_cvt_u32_f32_e32 v4, v4
	v_mul_lo_u32 v8, s0, v7
	v_mul_hi_u32 v9, s0, v4
	v_mul_lo_u32 v11, s1, v4
	v_mul_lo_u32 v10, s0, v4
	v_add_u32_e32 v8, v9, v8
	v_add_u32_e32 v8, v8, v11
	v_mul_hi_u32 v9, v4, v10
	v_mul_lo_u32 v11, v4, v8
	v_mul_hi_u32 v13, v4, v8
	v_mul_hi_u32 v12, v7, v10
	v_mul_lo_u32 v10, v7, v10
	v_mul_hi_u32 v14, v7, v8
	v_add_co_u32_e32 v9, vcc, v9, v11
	v_addc_co_u32_e32 v11, vcc, 0, v13, vcc
	v_mul_lo_u32 v8, v7, v8
	v_add_co_u32_e32 v9, vcc, v9, v10
	v_addc_co_u32_e32 v9, vcc, v11, v12, vcc
	v_addc_co_u32_e32 v10, vcc, 0, v14, vcc
	v_add_co_u32_e32 v8, vcc, v9, v8
	v_addc_co_u32_e32 v9, vcc, 0, v10, vcc
	v_add_co_u32_e32 v4, vcc, v4, v8
	v_addc_co_u32_e32 v7, vcc, v7, v9, vcc
	v_mul_lo_u32 v8, s0, v7
	v_mul_hi_u32 v9, s0, v4
	v_mul_lo_u32 v10, s1, v4
	v_mul_lo_u32 v11, s0, v4
	v_add_u32_e32 v8, v9, v8
	v_add_u32_e32 v8, v8, v10
	v_mul_lo_u32 v12, v4, v8
	v_mul_hi_u32 v13, v4, v11
	v_mul_hi_u32 v14, v4, v8
	v_mul_hi_u32 v10, v7, v11
	v_mul_lo_u32 v11, v7, v11
	v_mul_hi_u32 v9, v7, v8
	v_add_co_u32_e32 v12, vcc, v13, v12
	v_addc_co_u32_e32 v13, vcc, 0, v14, vcc
	v_mul_lo_u32 v8, v7, v8
	v_add_co_u32_e32 v11, vcc, v12, v11
	v_addc_co_u32_e32 v10, vcc, v13, v10, vcc
	v_addc_co_u32_e32 v9, vcc, 0, v9, vcc
	v_add_co_u32_e32 v8, vcc, v10, v8
	v_addc_co_u32_e32 v9, vcc, 0, v9, vcc
	v_add_co_u32_e32 v4, vcc, v4, v8
	v_addc_co_u32_e32 v9, vcc, v7, v9, vcc
	v_mad_u64_u32 v[7:8], s[0:1], v5, v9, 0
	v_mul_hi_u32 v10, v5, v4
	v_add_co_u32_e32 v11, vcc, v10, v7
	v_addc_co_u32_e32 v12, vcc, 0, v8, vcc
	v_mad_u64_u32 v[7:8], s[0:1], v6, v4, 0
	v_mad_u64_u32 v[9:10], s[0:1], v6, v9, 0
	v_add_co_u32_e32 v4, vcc, v11, v7
	v_addc_co_u32_e32 v4, vcc, v12, v8, vcc
	v_addc_co_u32_e32 v7, vcc, 0, v10, vcc
	v_add_co_u32_e32 v4, vcc, v4, v9
	v_addc_co_u32_e32 v9, vcc, 0, v7, vcc
	v_mul_lo_u32 v10, s25, v4
	v_mul_lo_u32 v11, s24, v9
	v_mad_u64_u32 v[7:8], s[0:1], s24, v4, 0
	v_add3_u32 v8, v8, v11, v10
	v_sub_u32_e32 v10, v6, v8
	v_mov_b32_e32 v11, s25
	v_sub_co_u32_e32 v7, vcc, v5, v7
	v_subb_co_u32_e64 v10, s[0:1], v10, v11, vcc
	v_subrev_co_u32_e64 v11, s[0:1], s24, v7
	v_subbrev_co_u32_e64 v10, s[0:1], 0, v10, s[0:1]
	v_cmp_le_u32_e64 s[0:1], s25, v10
	v_cndmask_b32_e64 v12, 0, -1, s[0:1]
	v_cmp_le_u32_e64 s[0:1], s24, v11
	v_cndmask_b32_e64 v11, 0, -1, s[0:1]
	v_cmp_eq_u32_e64 s[0:1], s25, v10
	v_cndmask_b32_e64 v10, v12, v11, s[0:1]
	v_add_co_u32_e64 v11, s[0:1], 2, v4
	v_addc_co_u32_e64 v12, s[0:1], 0, v9, s[0:1]
	v_add_co_u32_e64 v13, s[0:1], 1, v4
	v_addc_co_u32_e64 v14, s[0:1], 0, v9, s[0:1]
	v_subb_co_u32_e32 v8, vcc, v6, v8, vcc
	v_cmp_ne_u32_e64 s[0:1], 0, v10
	v_cmp_le_u32_e32 vcc, s25, v8
	v_cndmask_b32_e64 v10, v14, v12, s[0:1]
	v_cndmask_b32_e64 v12, 0, -1, vcc
	v_cmp_le_u32_e32 vcc, s24, v7
	v_cndmask_b32_e64 v7, 0, -1, vcc
	v_cmp_eq_u32_e32 vcc, s25, v8
	v_cndmask_b32_e32 v7, v12, v7, vcc
	v_cmp_ne_u32_e32 vcc, 0, v7
	v_cndmask_b32_e64 v7, v13, v11, s[0:1]
	v_cndmask_b32_e32 v59, v9, v10, vcc
	v_cndmask_b32_e32 v58, v4, v7, vcc
.LBB0_4:                                ;   in Loop: Header=BB0_2 Depth=1
	s_andn2_saveexec_b64 s[0:1], s[26:27]
	s_cbranch_execz .LBB0_6
; %bb.5:                                ;   in Loop: Header=BB0_2 Depth=1
	v_cvt_f32_u32_e32 v4, s24
	s_sub_i32 s26, 0, s24
	v_mov_b32_e32 v59, v3
	v_rcp_iflag_f32_e32 v4, v4
	v_mul_f32_e32 v4, 0x4f7ffffe, v4
	v_cvt_u32_f32_e32 v4, v4
	v_mul_lo_u32 v7, s26, v4
	v_mul_hi_u32 v7, v4, v7
	v_add_u32_e32 v4, v4, v7
	v_mul_hi_u32 v4, v5, v4
	v_mul_lo_u32 v7, v4, s24
	v_add_u32_e32 v8, 1, v4
	v_sub_u32_e32 v7, v5, v7
	v_subrev_u32_e32 v9, s24, v7
	v_cmp_le_u32_e32 vcc, s24, v7
	v_cndmask_b32_e32 v7, v7, v9, vcc
	v_cndmask_b32_e32 v4, v4, v8, vcc
	v_add_u32_e32 v8, 1, v4
	v_cmp_le_u32_e32 vcc, s24, v7
	v_cndmask_b32_e32 v58, v4, v8, vcc
.LBB0_6:                                ;   in Loop: Header=BB0_2 Depth=1
	s_or_b64 exec, exec, s[0:1]
	v_mul_lo_u32 v4, v59, s24
	v_mul_lo_u32 v9, v58, s25
	v_mad_u64_u32 v[7:8], s[0:1], v58, s24, 0
	s_load_dwordx2 s[0:1], s[6:7], 0x0
	s_load_dwordx2 s[24:25], s[2:3], 0x0
	v_add3_u32 v4, v8, v9, v4
	v_sub_co_u32_e32 v5, vcc, v5, v7
	v_subb_co_u32_e32 v4, vcc, v6, v4, vcc
	s_waitcnt lgkmcnt(0)
	v_mul_lo_u32 v6, s0, v4
	v_mul_lo_u32 v7, s1, v5
	v_mad_u64_u32 v[1:2], s[0:1], s0, v5, v[1:2]
	v_mul_lo_u32 v4, s24, v4
	v_mul_lo_u32 v8, s25, v5
	v_mad_u64_u32 v[56:57], s[0:1], s24, v5, v[56:57]
	s_add_u32 s22, s22, 1
	s_addc_u32 s23, s23, 0
	s_add_u32 s2, s2, 8
	v_add3_u32 v57, v8, v57, v4
	s_addc_u32 s3, s3, 0
	v_mov_b32_e32 v4, s14
	s_add_u32 s6, s6, 8
	v_mov_b32_e32 v5, s15
	s_addc_u32 s7, s7, 0
	v_cmp_ge_u64_e32 vcc, s[22:23], v[4:5]
	s_add_u32 s20, s20, 8
	v_add3_u32 v2, v7, v2, v6
	s_addc_u32 s21, s21, 0
	s_cbranch_vccnz .LBB0_9
; %bb.7:                                ;   in Loop: Header=BB0_2 Depth=1
	v_mov_b32_e32 v5, v58
	v_mov_b32_e32 v6, v59
	s_branch .LBB0_2
.LBB0_8:
	v_mov_b32_e32 v57, v2
	v_mov_b32_e32 v59, v6
	;; [unrolled: 1-line block ×4, first 2 shown]
.LBB0_9:
	s_load_dwordx2 s[4:5], s[4:5], 0x28
	s_lshl_b64 s[6:7], s[14:15], 3
	s_add_u32 s2, s18, s6
	s_addc_u32 s3, s19, s7
                                        ; implicit-def: $vgpr60
                                        ; implicit-def: $vgpr62
                                        ; implicit-def: $vgpr65
                                        ; implicit-def: $vgpr64
	s_waitcnt lgkmcnt(0)
	v_cmp_gt_u64_e64 s[0:1], s[4:5], v[58:59]
	v_cmp_le_u64_e32 vcc, s[4:5], v[58:59]
	s_and_saveexec_b64 s[4:5], vcc
	s_xor_b64 s[4:5], exec, s[4:5]
; %bb.10:
	s_mov_b32 s14, 0x1767dcf
	v_mul_hi_u32 v1, v0, s14
	v_mul_u32_u24_e32 v1, 0xaf, v1
	v_sub_u32_e32 v60, v0, v1
	v_add_u32_e32 v62, 0xaf, v60
	v_add_u32_e32 v65, 0x15e, v60
	;; [unrolled: 1-line block ×3, first 2 shown]
                                        ; implicit-def: $vgpr0
                                        ; implicit-def: $vgpr1_vgpr2
; %bb.11:
	s_andn2_saveexec_b64 s[4:5], s[4:5]
	s_cbranch_execz .LBB0_13
; %bb.12:
	s_add_u32 s6, s16, s6
	s_addc_u32 s7, s17, s7
	s_load_dwordx2 s[6:7], s[6:7], 0x0
	s_mov_b32 s14, 0x1767dcf
	v_mul_hi_u32 v5, v0, s14
	s_waitcnt lgkmcnt(0)
	v_mul_lo_u32 v6, s7, v58
	v_mul_lo_u32 v7, s6, v59
	v_mad_u64_u32 v[3:4], s[6:7], s6, v58, 0
	v_mul_u32_u24_e32 v5, 0xaf, v5
	v_sub_u32_e32 v60, v0, v5
	v_add3_u32 v4, v4, v7, v6
	v_lshlrev_b64 v[3:4], 4, v[3:4]
	v_mov_b32_e32 v0, s9
	v_add_co_u32_e32 v3, vcc, s8, v3
	v_addc_co_u32_e32 v4, vcc, v0, v4, vcc
	v_lshlrev_b64 v[0:1], 4, v[1:2]
	v_lshlrev_b32_e32 v44, 4, v60
	v_add_co_u32_e32 v0, vcc, v3, v0
	v_addc_co_u32_e32 v1, vcc, v4, v1, vcc
	v_add_co_u32_e32 v32, vcc, v0, v44
	v_addc_co_u32_e32 v33, vcc, 0, v1, vcc
	s_movk_i32 s6, 0x1000
	v_add_co_u32_e32 v16, vcc, s6, v32
	v_addc_co_u32_e32 v17, vcc, 0, v33, vcc
	s_movk_i32 s6, 0x2000
	;; [unrolled: 3-line block ×4, first 2 shown]
	v_add_co_u32_e32 v34, vcc, s6, v32
	v_addc_co_u32_e32 v35, vcc, 0, v33, vcc
	v_add_co_u32_e32 v40, vcc, 0x5000, v32
	v_addc_co_u32_e32 v41, vcc, 0, v33, vcc
	v_add_co_u32_e32 v42, vcc, 0x6000, v32
	global_load_dwordx4 v[0:3], v[32:33], off
	global_load_dwordx4 v[4:7], v[32:33], off offset:2800
	global_load_dwordx4 v[8:11], v[16:17], off offset:1504
	;; [unrolled: 1-line block ×3, first 2 shown]
	s_nop 0
	global_load_dwordx4 v[16:19], v[24:25], off offset:3008
	global_load_dwordx4 v[20:23], v[26:27], off offset:1712
	s_nop 0
	global_load_dwordx4 v[24:27], v[34:35], off offset:416
	global_load_dwordx4 v[28:31], v[34:35], off offset:3216
	v_addc_co_u32_e32 v43, vcc, 0, v33, vcc
	global_load_dwordx4 v[32:35], v[40:41], off offset:1920
	global_load_dwordx4 v[36:39], v[42:43], off offset:624
	v_add_u32_e32 v62, 0xaf, v60
	v_add_u32_e32 v65, 0x15e, v60
	;; [unrolled: 1-line block ×4, first 2 shown]
	s_waitcnt vmcnt(9)
	ds_write_b128 v40, v[0:3]
	s_waitcnt vmcnt(8)
	ds_write_b128 v40, v[4:7] offset:2800
	s_waitcnt vmcnt(7)
	ds_write_b128 v40, v[8:11] offset:5600
	;; [unrolled: 2-line block ×9, first 2 shown]
.LBB0_13:
	s_or_b64 exec, exec, s[4:5]
	v_lshlrev_b32_e32 v61, 4, v60
	v_add_u32_e32 v67, 0, v61
	s_load_dwordx2 s[2:3], s[2:3], 0x0
	s_waitcnt lgkmcnt(0)
	s_barrier
	ds_read_b128 v[0:3], v67 offset:14000
	ds_read_b128 v[4:7], v67
	ds_read_b128 v[8:11], v67 offset:2800
	ds_read_b128 v[13:16], v67 offset:11200
	;; [unrolled: 1-line block ×5, first 2 shown]
	s_waitcnt lgkmcnt(5)
	v_add_f64 v[0:1], v[4:5], -v[0:1]
	v_add_f64 v[2:3], v[6:7], -v[2:3]
	ds_read_b128 v[29:32], v67 offset:8400
	ds_read_b128 v[33:36], v67 offset:22400
	;; [unrolled: 1-line block ×3, first 2 shown]
	s_waitcnt lgkmcnt(5)
	v_add_f64 v[17:18], v[8:9], -v[17:18]
	v_add_f64 v[19:20], v[10:11], -v[19:20]
	s_waitcnt lgkmcnt(3)
	v_add_f64 v[21:22], v[25:26], -v[21:22]
	v_add_f64 v[23:24], v[27:28], -v[23:24]
	v_fma_f64 v[4:5], v[4:5], 2.0, -v[0:1]
	v_fma_f64 v[6:7], v[6:7], 2.0, -v[2:3]
	s_waitcnt lgkmcnt(0)
	v_add_f64 v[37:38], v[13:14], -v[37:38]
	v_add_f64 v[39:40], v[15:16], -v[39:40]
	;; [unrolled: 1-line block ×4, first 2 shown]
	v_fma_f64 v[8:9], v[8:9], 2.0, -v[17:18]
	v_fma_f64 v[10:11], v[10:11], 2.0, -v[19:20]
	v_add_u32_e32 v41, v67, v61
	v_fma_f64 v[25:26], v[25:26], 2.0, -v[21:22]
	v_fma_f64 v[27:28], v[27:28], 2.0, -v[23:24]
	s_barrier
	ds_write_b128 v41, v[4:7]
	ds_write_b128 v41, v[0:3] offset:16
	v_fma_f64 v[0:1], v[13:14], 2.0, -v[37:38]
	v_fma_f64 v[2:3], v[15:16], 2.0, -v[39:40]
	;; [unrolled: 1-line block ×4, first 2 shown]
	v_lshl_add_u32 v12, v62, 5, 0
	ds_write_b128 v12, v[8:11]
	v_lshl_add_u32 v63, v65, 5, 0
	v_lshl_add_u32 v66, v64, 5, 0
	v_and_b32_e32 v11, 1, v60
	ds_write_b128 v12, v[17:20] offset:16
	ds_write_b128 v63, v[25:28]
	ds_write_b128 v63, v[21:24] offset:16
	ds_write_b128 v41, v[29:32] offset:16800
	;; [unrolled: 1-line block ×3, first 2 shown]
	ds_write_b128 v66, v[0:3]
	ds_write_b128 v66, v[37:40] offset:16
	v_lshlrev_b32_e32 v0, 6, v11
	s_waitcnt lgkmcnt(0)
	s_barrier
	global_load_dwordx4 v[3:6], v0, s[12:13]
	global_load_dwordx4 v[7:10], v0, s[12:13] offset:16
	global_load_dwordx4 v[14:17], v0, s[12:13] offset:32
	;; [unrolled: 1-line block ×3, first 2 shown]
	v_and_b32_e32 v68, 1, v62
	v_lshlrev_b32_e32 v0, 6, v68
	global_load_dwordx4 v[22:25], v0, s[12:13]
	global_load_dwordx4 v[26:29], v0, s[12:13] offset:16
	global_load_dwordx4 v[30:33], v0, s[12:13] offset:32
	;; [unrolled: 1-line block ×3, first 2 shown]
	v_lshlrev_b32_e32 v69, 4, v65
	v_lshlrev_b32_e32 v70, 4, v64
	;; [unrolled: 1-line block ×3, first 2 shown]
	v_sub_u32_e32 v2, v63, v69
	v_sub_u32_e32 v1, v66, v70
	;; [unrolled: 1-line block ×3, first 2 shown]
	ds_read_b128 v[38:41], v2
	ds_read_b128 v[42:45], v67 offset:25200
	ds_read_b128 v[46:49], v1
	ds_read_b128 v[50:53], v0
	ds_read_b128 v[71:74], v67 offset:16800
	ds_read_b128 v[75:78], v67 offset:14000
	;; [unrolled: 1-line block ×5, first 2 shown]
	ds_read_b128 v[91:94], v67
	s_mov_b32 s8, 0x134454ff
	s_mov_b32 s9, 0x3fee6f0e
	;; [unrolled: 1-line block ×10, first 2 shown]
	s_waitcnt vmcnt(0) lgkmcnt(0)
	s_barrier
	s_movk_i32 s18, 0xcd
	v_sub_u32_e32 v13, 0, v13
	v_mul_f64 v[54:55], v[40:41], v[5:6]
	v_mul_f64 v[95:96], v[48:49], v[9:10]
	;; [unrolled: 1-line block ×9, first 2 shown]
	v_fma_f64 v[46:47], v[46:47], v[7:8], -v[95:96]
	v_fma_f64 v[7:8], v[48:49], v[7:8], v[9:10]
	v_fma_f64 v[9:10], v[71:72], v[14:15], -v[97:98]
	v_fma_f64 v[14:15], v[73:74], v[14:15], v[16:17]
	v_mul_f64 v[24:25], v[87:88], v[24:25]
	v_mul_f64 v[107:108], v[44:45], v[36:37]
	;; [unrolled: 1-line block ×3, first 2 shown]
	v_fma_f64 v[36:37], v[38:39], v[3:4], -v[54:55]
	v_fma_f64 v[38:39], v[40:41], v[3:4], v[5:6]
	v_fma_f64 v[40:41], v[79:80], v[18:19], -v[99:100]
	v_fma_f64 v[18:19], v[81:82], v[18:19], v[20:21]
	v_add_f64 v[3:4], v[46:47], v[9:10]
	v_add_f64 v[5:6], v[7:8], v[14:15]
	v_mul_f64 v[103:104], v[77:78], v[28:29]
	v_mul_f64 v[28:29], v[75:76], v[28:29]
	;; [unrolled: 1-line block ×3, first 2 shown]
	v_fma_f64 v[48:49], v[87:88], v[22:23], -v[101:102]
	v_fma_f64 v[54:55], v[89:90], v[22:23], v[24:25]
	v_add_f64 v[20:21], v[38:39], -v[18:19]
	v_add_f64 v[22:23], v[36:37], -v[40:41]
	v_fma_f64 v[3:4], v[3:4], -0.5, v[91:92]
	v_fma_f64 v[5:6], v[5:6], -0.5, v[93:94]
	v_mul_f64 v[32:33], v[83:84], v[32:33]
	v_fma_f64 v[71:72], v[75:76], v[26:27], -v[103:104]
	v_fma_f64 v[26:27], v[77:78], v[26:27], v[28:29]
	v_fma_f64 v[28:29], v[83:84], v[30:31], -v[105:106]
	v_add_f64 v[24:25], v[36:37], -v[46:47]
	v_add_f64 v[73:74], v[40:41], -v[9:10]
	;; [unrolled: 1-line block ×6, first 2 shown]
	v_fma_f64 v[83:84], v[20:21], s[8:9], v[3:4]
	v_fma_f64 v[87:88], v[22:23], s[16:17], v[5:6]
	;; [unrolled: 1-line block ×3, first 2 shown]
	v_fma_f64 v[32:33], v[42:43], v[34:35], -v[107:108]
	v_fma_f64 v[34:35], v[44:45], v[34:35], v[16:17]
	v_add_f64 v[24:25], v[24:25], v[73:74]
	v_add_f64 v[42:43], v[75:76], v[77:78]
	v_fma_f64 v[75:76], v[20:21], s[16:17], v[3:4]
	v_fma_f64 v[44:45], v[79:80], s[4:5], v[83:84]
	;; [unrolled: 1-line block ×4, first 2 shown]
	v_add_f64 v[83:84], v[38:39], v[18:19]
	v_add_f64 v[85:86], v[91:92], v[36:37]
	;; [unrolled: 1-line block ×4, first 2 shown]
	v_add_f64 v[36:37], v[46:47], -v[36:37]
	v_fma_f64 v[3:4], v[24:25], s[14:15], v[44:45]
	v_fma_f64 v[5:6], v[42:43], s[14:15], v[73:74]
	;; [unrolled: 1-line block ×4, first 2 shown]
	v_fma_f64 v[75:76], v[83:84], -0.5, v[93:94]
	v_add_f64 v[77:78], v[85:86], v[46:47]
	v_fma_f64 v[16:17], v[16:17], -0.5, v[91:92]
	v_add_f64 v[83:84], v[87:88], v[7:8]
	v_add_f64 v[85:86], v[9:10], -v[40:41]
	v_add_f64 v[7:8], v[7:8], -v[38:39]
	;; [unrolled: 1-line block ×3, first 2 shown]
	v_fma_f64 v[87:88], v[81:82], s[8:9], v[75:76]
	v_add_f64 v[77:78], v[77:78], v[9:10]
	v_fma_f64 v[9:10], v[81:82], s[16:17], v[75:76]
	v_fma_f64 v[46:47], v[79:80], s[16:17], v[16:17]
	;; [unrolled: 1-line block ×3, first 2 shown]
	v_add_f64 v[75:76], v[83:84], v[14:15]
	v_add_f64 v[38:39], v[7:8], v[38:39]
	v_fma_f64 v[7:8], v[24:25], s[14:15], v[44:45]
	v_fma_f64 v[79:80], v[22:23], s[6:7], v[87:88]
	v_add_f64 v[36:37], v[36:37], v[85:86]
	v_fma_f64 v[24:25], v[22:23], s[4:5], v[9:10]
	v_fma_f64 v[46:47], v[20:21], s[4:5], v[46:47]
	;; [unrolled: 1-line block ×3, first 2 shown]
	v_add_f64 v[16:17], v[75:76], v[18:19]
	v_fma_f64 v[9:10], v[42:43], s[14:15], v[73:74]
	v_add_f64 v[14:15], v[77:78], v[40:41]
	v_fma_f64 v[20:21], v[38:39], s[14:15], v[79:80]
	v_add_f64 v[42:43], v[48:49], -v[32:33]
	v_fma_f64 v[24:25], v[38:39], s[14:15], v[24:25]
	v_add_f64 v[38:39], v[26:27], v[30:31]
	v_fma_f64 v[18:19], v[36:37], s[14:15], v[46:47]
	v_fma_f64 v[22:23], v[36:37], s[14:15], v[81:82]
	v_add_f64 v[36:37], v[71:72], v[28:29]
	v_lshrrev_b32_e32 v40, 1, v60
	v_mul_u32_u24_e32 v40, 10, v40
	v_or_b32_e32 v11, v40, v11
	v_add_f64 v[40:41], v[54:55], -v[34:35]
	v_fma_f64 v[38:39], v[38:39], -0.5, v[52:53]
	v_lshl_add_u32 v11, v11, 4, 0
	v_add_f64 v[44:45], v[48:49], -v[71:72]
	v_fma_f64 v[36:37], v[36:37], -0.5, v[50:51]
	v_add_f64 v[46:47], v[32:33], -v[28:29]
	v_add_f64 v[73:74], v[54:55], -v[26:27]
	;; [unrolled: 1-line block ×4, first 2 shown]
	v_fma_f64 v[81:82], v[42:43], s[16:17], v[38:39]
	ds_write_b128 v11, v[14:17]
	ds_write_b128 v11, v[3:6] offset:32
	ds_write_b128 v11, v[18:21] offset:64
	v_add_f64 v[5:6], v[48:49], v[32:33]
	ds_write_b128 v11, v[22:25] offset:96
	v_add_f64 v[22:23], v[54:55], v[34:35]
	v_fma_f64 v[75:76], v[40:41], s[8:9], v[36:37]
	v_fma_f64 v[20:21], v[40:41], s[16:17], v[36:37]
	v_add_f64 v[24:25], v[50:51], v[48:49]
	v_add_f64 v[36:37], v[52:53], v[54:55]
	v_add_f64 v[77:78], v[26:27], -v[30:31]
	v_add_f64 v[14:15], v[44:45], v[46:47]
	v_add_f64 v[16:17], v[73:74], v[79:80]
	v_fma_f64 v[18:19], v[83:84], s[6:7], v[81:82]
	v_fma_f64 v[44:45], v[5:6], -0.5, v[50:51]
	v_fma_f64 v[22:23], v[22:23], -0.5, v[52:53]
	v_add_f64 v[24:25], v[24:25], v[71:72]
	v_add_f64 v[36:37], v[36:37], v[26:27]
	v_add_f64 v[26:27], v[26:27], -v[54:55]
	v_add_f64 v[50:51], v[30:31], -v[34:35]
	v_fma_f64 v[3:4], v[77:78], s[4:5], v[75:76]
	v_fma_f64 v[5:6], v[16:17], s[14:15], v[18:19]
	;; [unrolled: 1-line block ×3, first 2 shown]
	v_add_f64 v[38:39], v[71:72], -v[48:49]
	v_fma_f64 v[46:47], v[77:78], s[16:17], v[44:45]
	v_add_f64 v[48:49], v[28:29], -v[32:33]
	v_fma_f64 v[52:53], v[83:84], s[8:9], v[22:23]
	v_fma_f64 v[44:45], v[77:78], s[8:9], v[44:45]
	;; [unrolled: 1-line block ×4, first 2 shown]
	v_add_f64 v[24:25], v[24:25], v[28:29]
	v_add_f64 v[28:29], v[36:37], v[30:31]
	v_fma_f64 v[36:37], v[40:41], s[4:5], v[46:47]
	v_add_f64 v[30:31], v[38:39], v[48:49]
	v_add_f64 v[38:39], v[26:27], v[50:51]
	v_fma_f64 v[26:27], v[42:43], s[6:7], v[52:53]
	v_fma_f64 v[40:41], v[40:41], s[6:7], v[44:45]
	;; [unrolled: 1-line block ×6, first 2 shown]
	v_add_f64 v[18:19], v[24:25], v[32:33]
	v_add_f64 v[20:21], v[28:29], v[34:35]
	v_lshrrev_b32_e32 v28, 1, v62
	v_fma_f64 v[22:23], v[30:31], s[14:15], v[36:37]
	v_fma_f64 v[24:25], v[38:39], s[14:15], v[26:27]
	;; [unrolled: 1-line block ×3, first 2 shown]
	v_mul_lo_u32 v30, v28, 10
	v_fma_f64 v[28:29], v[38:39], s[14:15], v[42:43]
	v_fma_f64 v[16:17], v[16:17], s[14:15], v[44:45]
	ds_write_b128 v11, v[7:10] offset:128
	v_or_b32_e32 v7, v30, v68
	v_lshl_add_u32 v7, v7, 4, 0
	ds_write_b128 v7, v[18:21]
	ds_write_b128 v7, v[3:6] offset:32
	ds_write_b128 v7, v[22:25] offset:64
	;; [unrolled: 1-line block ×4, first 2 shown]
	v_mul_lo_u16_sdwa v3, v60, s18 dst_sel:DWORD dst_unused:UNUSED_PAD src0_sel:BYTE_0 src1_sel:DWORD
	v_lshrrev_b16_e32 v68, 11, v3
	v_mul_lo_u16_e32 v3, 10, v68
	v_sub_u16_e32 v92, v60, v3
	v_mov_b32_e32 v71, 6
	v_lshlrev_b32_sdwa v11, v71, v92 dst_sel:DWORD dst_unused:UNUSED_PAD src0_sel:DWORD src1_sel:BYTE_0
	s_waitcnt lgkmcnt(0)
	s_barrier
	global_load_dwordx4 v[3:6], v11, s[12:13] offset:128
	global_load_dwordx4 v[7:10], v11, s[12:13] offset:144
	;; [unrolled: 1-line block ×4, first 2 shown]
	s_mov_b32 s18, 0xcccd
	v_mul_u32_u24_sdwa v11, v62, s18 dst_sel:DWORD dst_unused:UNUSED_PAD src0_sel:WORD_0 src1_sel:DWORD
	v_lshrrev_b32_e32 v93, 19, v11
	v_mul_lo_u16_e32 v11, 10, v93
	v_sub_u16_e32 v94, v62, v11
	v_lshlrev_b32_e32 v11, 6, v94
	global_load_dwordx4 v[22:25], v11, s[12:13] offset:128
	global_load_dwordx4 v[26:29], v11, s[12:13] offset:144
	;; [unrolled: 1-line block ×4, first 2 shown]
	ds_read_b128 v[38:41], v2
	ds_read_b128 v[42:45], v67 offset:25200
	ds_read_b128 v[46:49], v1
	ds_read_b128 v[50:53], v0
	ds_read_b128 v[72:75], v67 offset:16800
	ds_read_b128 v[80:83], v67 offset:22400
	;; [unrolled: 1-line block ×3, first 2 shown]
	s_waitcnt vmcnt(7) lgkmcnt(6)
	v_mul_f64 v[54:55], v[40:41], v[5:6]
	v_mul_f64 v[1:2], v[38:39], v[5:6]
	s_waitcnt vmcnt(6) lgkmcnt(4)
	v_mul_f64 v[5:6], v[48:49], v[9:10]
	v_mul_f64 v[9:10], v[46:47], v[9:10]
	s_waitcnt vmcnt(4) lgkmcnt(1)
	v_mul_f64 v[84:85], v[82:83], v[20:21]
	v_fma_f64 v[38:39], v[38:39], v[3:4], -v[54:55]
	v_mul_f64 v[54:55], v[74:75], v[16:17]
	v_mul_f64 v[16:17], v[72:73], v[16:17]
	v_fma_f64 v[40:41], v[40:41], v[3:4], v[1:2]
	ds_read_b128 v[0:3], v67 offset:19600
	v_fma_f64 v[46:47], v[46:47], v[7:8], -v[5:6]
	v_fma_f64 v[48:49], v[48:49], v[7:8], v[9:10]
	ds_read_b128 v[4:7], v67 offset:8400
	ds_read_b128 v[8:11], v67
	v_fma_f64 v[54:55], v[72:73], v[14:15], -v[54:55]
	v_fma_f64 v[14:15], v[74:75], v[14:15], v[16:17]
	v_mul_f64 v[16:17], v[80:81], v[20:21]
	s_waitcnt vmcnt(3) lgkmcnt(1)
	v_mul_f64 v[20:21], v[6:7], v[24:25]
	v_mul_f64 v[24:25], v[4:5], v[24:25]
	v_fma_f64 v[72:73], v[80:81], v[18:19], -v[84:85]
	s_waitcnt vmcnt(2)
	v_mul_f64 v[74:75], v[78:79], v[28:29]
	v_mul_f64 v[28:29], v[76:77], v[28:29]
	s_waitcnt vmcnt(1)
	v_mul_f64 v[80:81], v[2:3], v[32:33]
	v_add_f64 v[90:91], v[46:47], -v[54:55]
	v_fma_f64 v[16:17], v[82:83], v[18:19], v[16:17]
	v_fma_f64 v[82:83], v[4:5], v[22:23], -v[20:21]
	v_add_f64 v[4:5], v[48:49], v[14:15]
	v_fma_f64 v[22:23], v[6:7], v[22:23], v[24:25]
	v_fma_f64 v[24:25], v[76:77], v[26:27], -v[74:75]
	v_fma_f64 v[26:27], v[78:79], v[26:27], v[28:29]
	v_fma_f64 v[28:29], v[0:1], v[30:31], -v[80:81]
	v_mul_f64 v[0:1], v[0:1], v[32:33]
	v_add_f64 v[32:33], v[38:39], -v[72:73]
	v_add_f64 v[18:19], v[46:47], v[54:55]
	s_waitcnt lgkmcnt(0)
	v_fma_f64 v[4:5], v[4:5], -0.5, v[10:11]
	s_waitcnt vmcnt(0)
	v_mul_f64 v[20:21], v[44:45], v[36:37]
	v_mul_f64 v[36:37], v[42:43], v[36:37]
	v_add_f64 v[74:75], v[38:39], -v[46:47]
	v_add_f64 v[76:77], v[72:73], -v[54:55]
	;; [unrolled: 1-line block ×4, first 2 shown]
	v_fma_f64 v[30:31], v[2:3], v[30:31], v[0:1]
	v_fma_f64 v[88:89], v[32:33], s[16:17], v[4:5]
	v_add_f64 v[2:3], v[38:39], v[72:73]
	v_fma_f64 v[6:7], v[18:19], -0.5, v[8:9]
	v_add_f64 v[18:19], v[40:41], -v[16:17]
	v_fma_f64 v[42:43], v[42:43], v[34:35], -v[20:21]
	v_fma_f64 v[34:35], v[44:45], v[34:35], v[36:37]
	v_add_f64 v[20:21], v[74:75], v[76:77]
	v_add_f64 v[36:37], v[78:79], v[86:87]
	v_fma_f64 v[44:45], v[90:91], s[6:7], v[88:89]
	v_fma_f64 v[4:5], v[32:33], s[8:9], v[4:5]
	v_add_f64 v[74:75], v[40:41], v[16:17]
	v_add_f64 v[76:77], v[8:9], v[38:39]
	;; [unrolled: 1-line block ×3, first 2 shown]
	v_add_f64 v[84:85], v[48:49], -v[14:15]
	v_fma_f64 v[8:9], v[2:3], -0.5, v[8:9]
	v_fma_f64 v[80:81], v[18:19], s[8:9], v[6:7]
	v_fma_f64 v[6:7], v[18:19], s[16:17], v[6:7]
	;; [unrolled: 1-line block ×4, first 2 shown]
	v_fma_f64 v[4:5], v[74:75], -0.5, v[10:11]
	v_add_f64 v[10:11], v[76:77], v[46:47]
	v_add_f64 v[74:75], v[78:79], v[48:49]
	v_add_f64 v[38:39], v[46:47], -v[38:39]
	v_fma_f64 v[46:47], v[84:85], s[16:17], v[8:9]
	v_add_f64 v[76:77], v[54:55], -v[72:73]
	v_fma_f64 v[8:9], v[84:85], s[8:9], v[8:9]
	v_fma_f64 v[6:7], v[84:85], s[6:7], v[6:7]
	v_add_f64 v[40:41], v[48:49], -v[40:41]
	v_add_f64 v[48:49], v[14:15], -v[16:17]
	v_fma_f64 v[78:79], v[90:91], s[8:9], v[4:5]
	v_fma_f64 v[4:5], v[90:91], s[16:17], v[4:5]
	v_add_f64 v[10:11], v[10:11], v[54:55]
	v_add_f64 v[14:15], v[74:75], v[14:15]
	;; [unrolled: 1-line block ×3, first 2 shown]
	v_fma_f64 v[46:47], v[18:19], s[4:5], v[46:47]
	v_fma_f64 v[18:19], v[18:19], s[6:7], v[8:9]
	;; [unrolled: 1-line block ×3, first 2 shown]
	v_add_f64 v[40:41], v[40:41], v[48:49]
	v_fma_f64 v[48:49], v[32:33], s[6:7], v[78:79]
	v_fma_f64 v[32:33], v[32:33], s[4:5], v[4:5]
	;; [unrolled: 1-line block ×4, first 2 shown]
	v_add_f64 v[8:9], v[10:11], v[72:73]
	v_add_f64 v[10:11], v[14:15], v[16:17]
	v_add_f64 v[36:37], v[22:23], v[34:35]
	v_mov_b32_e32 v73, 4
	v_fma_f64 v[14:15], v[38:39], s[14:15], v[46:47]
	v_fma_f64 v[18:19], v[38:39], s[14:15], v[18:19]
	v_mul_u32_u24_e32 v38, 0x320, v68
	v_lshlrev_b32_sdwa v39, v73, v92 dst_sel:DWORD dst_unused:UNUSED_PAD src0_sel:DWORD src1_sel:BYTE_0
	v_add3_u32 v68, 0, v38, v39
	v_fma_f64 v[0:1], v[20:21], s[14:15], v[0:1]
	v_fma_f64 v[20:21], v[40:41], s[14:15], v[32:33]
	v_add_f64 v[32:33], v[82:83], v[42:43]
	s_barrier
	ds_write_b128 v68, v[8:11]
	v_fma_f64 v[8:9], v[36:37], -0.5, v[52:53]
	v_add_f64 v[10:11], v[24:25], -v[28:29]
	v_fma_f64 v[16:17], v[40:41], s[14:15], v[48:49]
	v_fma_f64 v[32:33], v[32:33], -0.5, v[50:51]
	v_add_f64 v[38:39], v[26:27], -v[30:31]
	v_add_f64 v[36:37], v[24:25], -v[82:83]
	;; [unrolled: 1-line block ×6, first 2 shown]
	v_fma_f64 v[76:77], v[10:11], s[8:9], v[8:9]
	ds_write_b128 v68, v[0:3] offset:160
	ds_write_b128 v68, v[14:17] offset:320
	ds_write_b128 v68, v[18:21] offset:480
	v_add_f64 v[2:3], v[24:25], v[28:29]
	ds_write_b128 v68, v[4:7] offset:640
	v_add_f64 v[6:7], v[26:27], v[30:31]
	v_fma_f64 v[48:49], v[38:39], s[16:17], v[32:33]
	v_add_f64 v[14:15], v[36:37], v[40:41]
	v_add_f64 v[36:37], v[44:45], v[54:55]
	v_fma_f64 v[16:17], v[74:75], s[6:7], v[76:77]
	v_fma_f64 v[4:5], v[38:39], s[8:9], v[32:33]
	v_add_f64 v[18:19], v[50:51], v[82:83]
	v_add_f64 v[32:33], v[52:53], v[22:23]
	v_add_f64 v[46:47], v[22:23], -v[34:35]
	v_fma_f64 v[20:21], v[2:3], -0.5, v[50:51]
	v_fma_f64 v[6:7], v[6:7], -0.5, v[52:53]
	v_add_f64 v[40:41], v[42:43], -v[28:29]
	v_fma_f64 v[2:3], v[36:37], s[14:15], v[16:17]
	v_add_f64 v[22:23], v[22:23], -v[26:27]
	v_add_f64 v[16:17], v[18:19], v[24:25]
	v_add_f64 v[32:33], v[32:33], v[26:27]
	v_add_f64 v[18:19], v[82:83], -v[24:25]
	v_fma_f64 v[24:25], v[46:47], s[8:9], v[20:21]
	v_add_f64 v[26:27], v[34:35], -v[30:31]
	v_fma_f64 v[44:45], v[74:75], s[16:17], v[6:7]
	v_fma_f64 v[8:9], v[10:11], s[16:17], v[8:9]
	v_fma_f64 v[20:21], v[46:47], s[16:17], v[20:21]
	v_fma_f64 v[6:7], v[74:75], s[8:9], v[6:7]
	v_fma_f64 v[0:1], v[46:47], s[4:5], v[48:49]
	v_fma_f64 v[4:5], v[46:47], s[6:7], v[4:5]
	v_add_f64 v[16:17], v[16:17], v[28:29]
	v_add_f64 v[28:29], v[32:33], v[30:31]
	;; [unrolled: 1-line block ×3, first 2 shown]
	v_fma_f64 v[18:19], v[38:39], s[4:5], v[24:25]
	v_add_f64 v[22:23], v[22:23], v[26:27]
	v_fma_f64 v[24:25], v[10:11], s[6:7], v[44:45]
	v_fma_f64 v[8:9], v[74:75], s[4:5], v[8:9]
	;; [unrolled: 1-line block ×6, first 2 shown]
	v_add_f64 v[14:15], v[16:17], v[42:43]
	v_add_f64 v[16:17], v[28:29], v[34:35]
	v_fma_f64 v[18:19], v[30:31], s[14:15], v[18:19]
	v_fma_f64 v[20:21], v[22:23], s[14:15], v[24:25]
	;; [unrolled: 1-line block ×5, first 2 shown]
	v_mul_u32_u24_e32 v22, 0x320, v93
	v_lshlrev_b32_e32 v23, 4, v94
	v_add3_u32 v22, 0, v22, v23
	ds_write_b128 v22, v[14:17]
	ds_write_b128 v22, v[18:21] offset:160
	ds_write_b128 v22, v[0:3] offset:320
	;; [unrolled: 1-line block ×4, first 2 shown]
	s_waitcnt lgkmcnt(0)
	s_barrier
	ds_read_b128 v[28:31], v67
	ds_read_b128 v[48:51], v67 offset:4000
	ds_read_b128 v[44:47], v67 offset:8000
	;; [unrolled: 1-line block ×6, first 2 shown]
	s_movk_i32 s4, 0x4b
	v_add_u32_e32 v68, v12, v13
	v_cmp_gt_u32_e32 vcc, s4, v60
                                        ; implicit-def: $vgpr26_vgpr27
                                        ; implicit-def: $vgpr22_vgpr23
                                        ; implicit-def: $vgpr18_vgpr19
                                        ; implicit-def: $vgpr14_vgpr15
	s_and_saveexec_b64 s[4:5], vcc
	s_cbranch_execz .LBB0_15
; %bb.14:
	ds_read_b128 v[0:3], v68
	ds_read_b128 v[4:7], v67 offset:6800
	ds_read_b128 v[8:11], v67 offset:10800
	;; [unrolled: 1-line block ×6, first 2 shown]
.LBB0_15:
	s_or_b64 exec, exec, s[4:5]
	v_mov_b32_e32 v72, 41
	v_mul_lo_u16_sdwa v74, v60, v72 dst_sel:DWORD dst_unused:UNUSED_PAD src0_sel:BYTE_0 src1_sel:DWORD
	v_lshrrev_b16_e32 v98, 11, v74
	v_mul_lo_u16_e32 v74, 50, v98
	v_sub_u16_e32 v99, v60, v74
	v_mul_u32_u24_sdwa v71, v99, v71 dst_sel:DWORD dst_unused:UNUSED_PAD src0_sel:BYTE_0 src1_sel:DWORD
	v_lshlrev_b32_e32 v71, 4, v71
	global_load_dwordx4 v[74:77], v71, s[12:13] offset:768
	global_load_dwordx4 v[78:81], v71, s[12:13] offset:784
	;; [unrolled: 1-line block ×6, first 2 shown]
	v_mul_u32_u24_e32 v71, 0x15e0, v98
	v_lshlrev_b32_sdwa v73, v73, v99 dst_sel:DWORD dst_unused:UNUSED_PAD src0_sel:DWORD src1_sel:BYTE_0
	v_add3_u32 v71, 0, v71, v73
	s_mov_b32 s4, 0x37e14327
	s_mov_b32 s6, 0x36b3c0b5
	;; [unrolled: 1-line block ×20, first 2 shown]
	v_sub_u32_e32 v69, 0, v69
	v_sub_u32_e32 v70, 0, v70
	s_waitcnt vmcnt(0) lgkmcnt(0)
	s_barrier
	v_mul_f64 v[98:99], v[50:51], v[76:77]
	v_mul_f64 v[76:77], v[48:49], v[76:77]
	v_mul_f64 v[100:101], v[46:47], v[80:81]
	v_mul_f64 v[80:81], v[44:45], v[80:81]
	v_mul_f64 v[104:105], v[54:55], v[88:89]
	v_mul_f64 v[88:89], v[52:53], v[88:89]
	v_mul_f64 v[108:109], v[42:43], v[96:97]
	v_mul_f64 v[96:97], v[40:41], v[96:97]
	v_mul_f64 v[102:103], v[38:39], v[84:85]
	v_mul_f64 v[84:85], v[36:37], v[84:85]
	v_mul_f64 v[106:107], v[34:35], v[92:93]
	v_mul_f64 v[92:93], v[32:33], v[92:93]
	v_fma_f64 v[48:49], v[48:49], v[74:75], -v[98:99]
	v_fma_f64 v[50:51], v[50:51], v[74:75], v[76:77]
	v_fma_f64 v[44:45], v[44:45], v[78:79], -v[100:101]
	v_fma_f64 v[46:47], v[46:47], v[78:79], v[80:81]
	;; [unrolled: 2-line block ×6, first 2 shown]
	v_add_f64 v[73:74], v[48:49], v[52:53]
	v_add_f64 v[75:76], v[50:51], v[54:55]
	v_add_f64 v[48:49], v[48:49], -v[52:53]
	v_add_f64 v[50:51], v[50:51], -v[54:55]
	v_add_f64 v[52:53], v[44:45], v[40:41]
	v_add_f64 v[54:55], v[46:47], v[42:43]
	v_add_f64 v[40:41], v[44:45], -v[40:41]
	v_add_f64 v[42:43], v[46:47], -v[42:43]
	;; [unrolled: 4-line block ×4, first 2 shown]
	v_add_f64 v[73:74], v[73:74], -v[44:45]
	v_add_f64 v[75:76], v[75:76], -v[46:47]
	;; [unrolled: 1-line block ×4, first 2 shown]
	v_add_f64 v[81:82], v[32:33], v[40:41]
	v_add_f64 v[83:84], v[34:35], v[42:43]
	v_add_f64 v[85:86], v[32:33], -v[40:41]
	v_add_f64 v[87:88], v[34:35], -v[42:43]
	v_add_f64 v[36:37], v[44:45], v[36:37]
	v_add_f64 v[38:39], v[46:47], v[38:39]
	v_add_f64 v[40:41], v[40:41], -v[48:49]
	v_add_f64 v[42:43], v[42:43], -v[50:51]
	;; [unrolled: 1-line block ×4, first 2 shown]
	v_add_f64 v[44:45], v[81:82], v[48:49]
	v_add_f64 v[46:47], v[83:84], v[50:51]
	v_mul_f64 v[48:49], v[73:74], s[4:5]
	v_mul_f64 v[50:51], v[75:76], s[4:5]
	;; [unrolled: 1-line block ×6, first 2 shown]
	v_add_f64 v[28:29], v[28:29], v[36:37]
	v_add_f64 v[30:31], v[30:31], v[38:39]
	v_mul_f64 v[85:86], v[40:41], s[8:9]
	v_mul_f64 v[87:88], v[42:43], s[8:9]
	v_fma_f64 v[52:53], v[52:53], s[6:7], v[48:49]
	v_fma_f64 v[54:55], v[54:55], s[6:7], v[50:51]
	v_fma_f64 v[73:74], v[77:78], s[18:19], -v[73:74]
	v_fma_f64 v[75:76], v[79:80], s[18:19], -v[75:76]
	v_fma_f64 v[48:49], v[77:78], s[20:21], -v[48:49]
	v_fma_f64 v[50:51], v[79:80], s[20:21], -v[50:51]
	v_fma_f64 v[77:78], v[32:33], s[22:23], v[81:82]
	v_fma_f64 v[79:80], v[34:35], s[22:23], v[83:84]
	;; [unrolled: 1-line block ×4, first 2 shown]
	v_fma_f64 v[32:33], v[32:33], s[26:27], -v[85:86]
	v_fma_f64 v[34:35], v[34:35], s[26:27], -v[87:88]
	;; [unrolled: 1-line block ×4, first 2 shown]
	v_fma_f64 v[77:78], v[44:45], s[24:25], v[77:78]
	v_fma_f64 v[79:80], v[46:47], s[24:25], v[79:80]
	v_add_f64 v[52:53], v[52:53], v[36:37]
	v_add_f64 v[54:55], v[54:55], v[38:39]
	v_fma_f64 v[85:86], v[44:45], s[24:25], v[32:33]
	v_fma_f64 v[87:88], v[46:47], s[24:25], v[34:35]
	v_add_f64 v[48:49], v[48:49], v[36:37]
	v_add_f64 v[50:51], v[50:51], v[38:39]
	;; [unrolled: 4-line block ×3, first 2 shown]
	v_add_f64 v[32:33], v[79:80], v[52:53]
	v_add_f64 v[34:35], v[54:55], -v[77:78]
	v_add_f64 v[36:37], v[87:88], v[48:49]
	v_add_f64 v[38:39], v[50:51], -v[85:86]
	v_add_f64 v[48:49], v[48:49], -v[87:88]
	v_add_f64 v[50:51], v[85:86], v[50:51]
	v_add_f64 v[40:41], v[44:45], -v[83:84]
	v_add_f64 v[42:43], v[81:82], v[46:47]
	v_add_f64 v[44:45], v[83:84], v[44:45]
	v_add_f64 v[46:47], v[46:47], -v[81:82]
	v_add_f64 v[52:53], v[52:53], -v[79:80]
	v_add_f64 v[54:55], v[77:78], v[54:55]
	ds_write_b128 v71, v[28:31]
	ds_write_b128 v71, v[32:35] offset:800
	ds_write_b128 v71, v[36:39] offset:1600
	;; [unrolled: 1-line block ×6, first 2 shown]
	s_and_saveexec_b64 s[28:29], vcc
	s_cbranch_execz .LBB0_17
; %bb.16:
	v_lshrrev_b16_e32 v28, 1, v62
	v_mul_u32_u24_e32 v28, 0x147b, v28
	v_lshrrev_b32_e32 v28, 17, v28
	v_mul_lo_u16_e32 v28, 50, v28
	v_sub_u16_e32 v79, v62, v28
	v_mul_u32_u24_e32 v28, 6, v79
	v_lshlrev_b32_e32 v52, 4, v28
	global_load_dwordx4 v[28:31], v52, s[12:13] offset:816
	global_load_dwordx4 v[32:35], v52, s[12:13] offset:800
	;; [unrolled: 1-line block ×6, first 2 shown]
	v_mul_lo_u16_sdwa v52, v62, v72 dst_sel:DWORD dst_unused:UNUSED_PAD src0_sel:BYTE_0 src1_sel:DWORD
	v_lshrrev_b16_e32 v80, 11, v52
	s_waitcnt vmcnt(5)
	v_mul_f64 v[52:53], v[18:19], v[30:31]
	s_waitcnt vmcnt(4)
	v_mul_f64 v[54:55], v[14:15], v[34:35]
	s_waitcnt vmcnt(3)
	v_mul_f64 v[71:72], v[10:11], v[38:39]
	s_waitcnt vmcnt(2)
	v_mul_f64 v[73:74], v[22:23], v[42:43]
	s_waitcnt vmcnt(1)
	v_mul_f64 v[75:76], v[6:7], v[46:47]
	s_waitcnt vmcnt(0)
	v_mul_f64 v[77:78], v[26:27], v[50:51]
	v_mul_f64 v[38:39], v[8:9], v[38:39]
	v_mul_f64 v[42:43], v[20:21], v[42:43]
	;; [unrolled: 1-line block ×6, first 2 shown]
	v_fma_f64 v[8:9], v[8:9], v[36:37], -v[71:72]
	v_fma_f64 v[20:21], v[20:21], v[40:41], -v[73:74]
	;; [unrolled: 1-line block ×4, first 2 shown]
	v_fma_f64 v[10:11], v[10:11], v[36:37], v[38:39]
	v_fma_f64 v[22:23], v[22:23], v[40:41], v[42:43]
	;; [unrolled: 1-line block ×4, first 2 shown]
	v_fma_f64 v[16:17], v[16:17], v[28:29], -v[52:53]
	v_fma_f64 v[12:13], v[12:13], v[32:33], -v[54:55]
	v_fma_f64 v[14:15], v[14:15], v[32:33], v[34:35]
	v_fma_f64 v[18:19], v[18:19], v[28:29], v[30:31]
	v_add_f64 v[30:31], v[8:9], -v[20:21]
	v_add_f64 v[32:33], v[4:5], -v[24:25]
	v_add_f64 v[36:37], v[10:11], v[22:23]
	v_add_f64 v[38:39], v[6:7], v[26:27]
	;; [unrolled: 1-line block ×4, first 2 shown]
	v_add_f64 v[28:29], v[16:17], -v[12:13]
	v_add_f64 v[34:35], v[14:15], v[18:19]
	v_add_f64 v[12:13], v[12:13], v[16:17]
	v_add_f64 v[14:15], v[18:19], -v[14:15]
	v_add_f64 v[10:11], v[10:11], -v[22:23]
	;; [unrolled: 1-line block ×3, first 2 shown]
	v_add_f64 v[26:27], v[36:37], v[38:39]
	v_add_f64 v[42:43], v[8:9], v[4:5]
	v_add_f64 v[16:17], v[28:29], v[30:31]
	v_add_f64 v[18:19], v[28:29], -v[30:31]
	v_add_f64 v[20:21], v[32:33], -v[28:29]
	;; [unrolled: 1-line block ×6, first 2 shown]
	v_add_f64 v[26:27], v[34:35], v[26:27]
	v_add_f64 v[12:13], v[12:13], v[42:43]
	v_add_f64 v[30:31], v[30:31], -v[32:33]
	v_add_f64 v[4:5], v[8:9], -v[4:5]
	;; [unrolled: 1-line block ×4, first 2 shown]
	v_add_f64 v[44:45], v[14:15], v[10:11]
	v_add_f64 v[14:15], v[6:7], -v[14:15]
	v_add_f64 v[36:37], v[36:37], -v[38:39]
	v_add_f64 v[10:11], v[16:17], v[32:33]
	v_mul_f64 v[16:17], v[18:19], s[16:17]
	v_mul_f64 v[24:25], v[24:25], s[4:5]
	;; [unrolled: 1-line block ×4, first 2 shown]
	v_add_f64 v[2:3], v[2:3], v[26:27]
	v_add_f64 v[0:1], v[0:1], v[12:13]
	v_mul_f64 v[40:41], v[30:31], s[8:9]
	v_mul_f64 v[42:43], v[8:9], s[8:9]
	;; [unrolled: 1-line block ×4, first 2 shown]
	v_add_f64 v[6:7], v[44:45], v[6:7]
	v_fma_f64 v[44:45], v[20:21], s[22:23], v[16:17]
	v_fma_f64 v[22:23], v[22:23], s[6:7], v[24:25]
	;; [unrolled: 1-line block ×6, first 2 shown]
	v_fma_f64 v[20:21], v[20:21], s[26:27], -v[40:41]
	v_fma_f64 v[24:25], v[36:37], s[20:21], -v[24:25]
	;; [unrolled: 1-line block ×8, first 2 shown]
	v_fma_f64 v[30:31], v[10:11], s[24:25], v[44:45]
	v_fma_f64 v[32:33], v[6:7], s[24:25], v[46:47]
	v_add_f64 v[36:37], v[22:23], v[26:27]
	v_add_f64 v[28:29], v[28:29], v[12:13]
	v_fma_f64 v[20:21], v[10:11], s[24:25], v[20:21]
	v_add_f64 v[22:23], v[24:25], v[26:27]
	v_fma_f64 v[38:39], v[6:7], s[24:25], v[14:15]
	v_add_f64 v[34:35], v[34:35], v[12:13]
	v_fma_f64 v[16:17], v[10:11], s[24:25], v[16:17]
	v_add_f64 v[18:19], v[18:19], v[26:27]
	v_fma_f64 v[8:9], v[6:7], s[24:25], v[8:9]
	v_add_f64 v[4:5], v[4:5], v[12:13]
	v_add_f64 v[26:27], v[36:37], -v[30:31]
	v_add_f64 v[24:25], v[32:33], v[28:29]
	v_add_f64 v[10:11], v[20:21], v[22:23]
	v_add_f64 v[22:23], v[22:23], -v[20:21]
	v_add_f64 v[20:21], v[38:39], v[34:35]
	v_add_f64 v[14:15], v[18:19], -v[16:17]
	;; [unrolled: 2-line block ×4, first 2 shown]
	v_mul_u32_u24_e32 v48, 0x15e0, v80
	v_lshlrev_b32_e32 v49, 4, v79
	v_add_f64 v[6:7], v[30:31], v[36:37]
	v_add_f64 v[4:5], v[28:29], -v[32:33]
	v_add3_u32 v28, 0, v48, v49
	ds_write_b128 v28, v[0:3]
	ds_write_b128 v28, v[24:27] offset:800
	ds_write_b128 v28, v[20:23] offset:1600
	;; [unrolled: 1-line block ×6, first 2 shown]
.LBB0_17:
	s_or_b64 exec, exec, s[28:29]
	v_lshlrev_b32_e32 v1, 2, v60
	v_mov_b32_e32 v2, 0
	v_lshlrev_b64 v[0:1], 4, v[1:2]
	v_mov_b32_e32 v13, s13
	v_add_co_u32_e32 v3, vcc, s12, v0
	v_addc_co_u32_e32 v4, vcc, v13, v1, vcc
	s_movk_i32 s4, 0x15c0
	v_add_co_u32_e32 v0, vcc, s4, v3
	v_addc_co_u32_e32 v1, vcc, 0, v4, vcc
	s_movk_i32 s5, 0x1000
	v_add_co_u32_e32 v11, vcc, s5, v3
	v_addc_co_u32_e32 v12, vcc, 0, v4, vcc
	s_waitcnt lgkmcnt(0)
	s_barrier
	global_load_dwordx4 v[3:6], v[11:12], off offset:1472
	global_load_dwordx4 v[7:10], v[0:1], off offset:48
	;; [unrolled: 1-line block ×4, first 2 shown]
	v_lshlrev_b32_e32 v1, 2, v62
	v_lshlrev_b64 v[0:1], 4, v[1:2]
	s_mov_b32 s8, 0x134454ff
	v_add_co_u32_e32 v11, vcc, s12, v0
	v_addc_co_u32_e32 v12, vcc, v13, v1, vcc
	v_add_co_u32_e32 v0, vcc, s5, v11
	v_addc_co_u32_e32 v1, vcc, 0, v12, vcc
	global_load_dwordx4 v[22:25], v[0:1], off offset:1472
	v_add_co_u32_e32 v0, vcc, s4, v11
	v_addc_co_u32_e32 v1, vcc, 0, v12, vcc
	global_load_dwordx4 v[26:29], v[0:1], off offset:16
	global_load_dwordx4 v[30:33], v[0:1], off offset:32
	;; [unrolled: 1-line block ×3, first 2 shown]
	v_add_u32_e32 v13, v63, v69
	v_add_u32_e32 v12, v66, v70
	ds_read_b128 v[38:41], v68
	ds_read_b128 v[42:45], v67
	ds_read_b128 v[46:49], v67 offset:8400
	ds_read_b128 v[50:53], v67 offset:16800
	ds_read_b128 v[69:72], v67 offset:14000
	ds_read_b128 v[73:76], v67 offset:22400
	ds_read_b128 v[77:80], v67 offset:19600
	ds_read_b128 v[81:84], v13
	ds_read_b128 v[85:88], v12
	ds_read_b128 v[89:92], v67 offset:25200
	s_mov_b32 s9, 0x3fee6f0e
	s_mov_b32 s17, 0xbfee6f0e
	;; [unrolled: 1-line block ×9, first 2 shown]
	s_waitcnt vmcnt(0) lgkmcnt(0)
	s_barrier
	v_cmp_ne_u32_e32 vcc, 0, v60
	v_mul_f64 v[0:1], v[83:84], v[5:6]
	v_mul_f64 v[5:6], v[81:82], v[5:6]
	;; [unrolled: 1-line block ×8, first 2 shown]
	v_fma_f64 v[0:1], v[81:82], v[3:4], -v[0:1]
	v_fma_f64 v[81:82], v[83:84], v[3:4], v[5:6]
	v_fma_f64 v[5:6], v[50:51], v[14:15], -v[93:94]
	v_fma_f64 v[3:4], v[85:86], v[18:19], -v[54:55]
	v_fma_f64 v[16:17], v[52:53], v[14:15], v[16:17]
	v_fma_f64 v[14:15], v[73:74], v[7:8], -v[95:96]
	v_fma_f64 v[20:21], v[87:88], v[18:19], v[20:21]
	v_mul_f64 v[97:98], v[48:49], v[24:25]
	v_mul_f64 v[24:25], v[46:47], v[24:25]
	v_fma_f64 v[9:10], v[75:76], v[7:8], v[9:10]
	v_mul_f64 v[99:100], v[71:72], v[28:29]
	v_mul_f64 v[28:29], v[69:70], v[28:29]
	;; [unrolled: 1-line block ×6, first 2 shown]
	v_add_f64 v[18:19], v[3:4], v[5:6]
	v_fma_f64 v[46:47], v[46:47], v[22:23], -v[97:98]
	v_fma_f64 v[50:51], v[69:70], v[26:27], -v[99:100]
	v_fma_f64 v[28:29], v[71:72], v[26:27], v[28:29]
	v_add_f64 v[26:27], v[0:1], v[14:15]
	v_fma_f64 v[48:49], v[48:49], v[22:23], v[24:25]
	v_fma_f64 v[52:53], v[77:78], v[30:31], -v[101:102]
	v_fma_f64 v[32:33], v[79:80], v[30:31], v[32:33]
	v_fma_f64 v[54:55], v[89:90], v[34:35], -v[103:104]
	v_fma_f64 v[36:37], v[91:92], v[34:35], v[36:37]
	v_add_f64 v[7:8], v[42:43], v[0:1]
	v_add_f64 v[22:23], v[81:82], -v[9:10]
	v_add_f64 v[24:25], v[20:21], -v[16:17]
	;; [unrolled: 1-line block ×4, first 2 shown]
	v_fma_f64 v[18:19], v[18:19], -0.5, v[42:43]
	v_fma_f64 v[26:27], v[26:27], -0.5, v[42:43]
	v_add_f64 v[69:70], v[3:4], -v[0:1]
	v_add_f64 v[71:72], v[5:6], -v[14:15]
	v_add_f64 v[73:74], v[44:45], v[81:82]
	v_add_f64 v[42:43], v[3:4], -v[5:6]
	v_add_f64 v[3:4], v[7:8], v[3:4]
	v_add_f64 v[30:31], v[30:31], v[34:35]
	v_fma_f64 v[7:8], v[22:23], s[8:9], v[18:19]
	v_fma_f64 v[18:19], v[22:23], s[16:17], v[18:19]
	v_fma_f64 v[34:35], v[24:25], s[16:17], v[26:27]
	v_add_f64 v[69:70], v[69:70], v[71:72]
	v_add_f64 v[71:72], v[73:74], v[20:21]
	v_fma_f64 v[26:27], v[24:25], s[8:9], v[26:27]
	v_add_f64 v[75:76], v[20:21], v[16:17]
	v_add_f64 v[77:78], v[81:82], v[9:10]
	;; [unrolled: 1-line block ×3, first 2 shown]
	v_fma_f64 v[5:6], v[24:25], s[4:5], v[7:8]
	v_fma_f64 v[18:19], v[24:25], s[14:15], v[18:19]
	;; [unrolled: 1-line block ×3, first 2 shown]
	v_add_f64 v[34:35], v[50:51], v[52:53]
	v_add_f64 v[71:72], v[71:72], v[16:17]
	v_fma_f64 v[22:23], v[22:23], s[14:15], v[26:27]
	v_add_f64 v[0:1], v[0:1], -v[14:15]
	v_fma_f64 v[73:74], v[75:76], -0.5, v[44:45]
	v_add_f64 v[3:4], v[3:4], v[14:15]
	v_fma_f64 v[7:8], v[30:31], s[6:7], v[5:6]
	v_fma_f64 v[14:15], v[30:31], s[6:7], v[18:19]
	;; [unrolled: 1-line block ×3, first 2 shown]
	v_add_f64 v[24:25], v[81:82], -v[20:21]
	v_add_f64 v[30:31], v[9:10], -v[16:17]
	v_fma_f64 v[44:45], v[77:78], -0.5, v[44:45]
	v_fma_f64 v[22:23], v[69:70], s[6:7], v[22:23]
	v_add_f64 v[5:6], v[71:72], v[9:10]
	v_add_f64 v[69:70], v[38:39], v[46:47]
	v_fma_f64 v[34:35], v[34:35], -0.5, v[38:39]
	v_add_f64 v[71:72], v[48:49], -v[36:37]
	v_fma_f64 v[26:27], v[0:1], s[16:17], v[73:74]
	v_add_f64 v[24:25], v[24:25], v[30:31]
	v_fma_f64 v[30:31], v[0:1], s[8:9], v[73:74]
	v_fma_f64 v[73:74], v[42:43], s[8:9], v[44:45]
	v_add_f64 v[20:21], v[20:21], -v[81:82]
	v_add_f64 v[9:10], v[16:17], -v[9:10]
	v_fma_f64 v[16:17], v[42:43], s[16:17], v[44:45]
	v_add_f64 v[44:45], v[69:70], v[50:51]
	v_fma_f64 v[69:70], v[71:72], s[8:9], v[34:35]
	v_add_f64 v[75:76], v[28:29], -v[32:33]
	v_add_f64 v[77:78], v[46:47], -v[50:51]
	;; [unrolled: 1-line block ×3, first 2 shown]
	v_fma_f64 v[26:27], v[42:43], s[14:15], v[26:27]
	v_fma_f64 v[30:31], v[42:43], s[4:5], v[30:31]
	;; [unrolled: 1-line block ×3, first 2 shown]
	v_add_f64 v[81:82], v[20:21], v[9:10]
	v_fma_f64 v[0:1], v[0:1], s[4:5], v[16:17]
	v_fma_f64 v[69:70], v[75:76], s[4:5], v[69:70]
	v_add_f64 v[44:45], v[44:45], v[52:53]
	v_add_f64 v[77:78], v[77:78], v[79:80]
	v_fma_f64 v[9:10], v[24:25], s[6:7], v[26:27]
	v_fma_f64 v[16:17], v[24:25], s[6:7], v[30:31]
	v_add_f64 v[42:43], v[46:47], v[54:55]
	v_add_f64 v[79:80], v[40:41], v[48:49]
	v_fma_f64 v[24:25], v[81:82], s[6:7], v[0:1]
	v_add_f64 v[0:1], v[28:29], v[32:33]
	v_fma_f64 v[20:21], v[81:82], s[6:7], v[73:74]
	v_fma_f64 v[30:31], v[77:78], s[6:7], v[69:70]
	v_add_f64 v[69:70], v[48:49], v[36:37]
	v_add_f64 v[26:27], v[44:45], v[54:55]
	v_add_f64 v[44:45], v[50:51], -v[46:47]
	v_add_f64 v[73:74], v[52:53], -v[54:55]
	v_add_f64 v[46:47], v[46:47], -v[54:55]
	v_fma_f64 v[0:1], v[0:1], -0.5, v[40:41]
	v_fma_f64 v[38:39], v[42:43], -0.5, v[38:39]
	v_fma_f64 v[34:35], v[71:72], s[16:17], v[34:35]
	v_add_f64 v[50:51], v[50:51], -v[52:53]
	v_fma_f64 v[40:41], v[69:70], -0.5, v[40:41]
	v_add_f64 v[52:53], v[79:80], v[28:29]
	v_add_f64 v[44:45], v[44:45], v[73:74]
	v_add_f64 v[69:70], v[48:49], -v[28:29]
	v_fma_f64 v[54:55], v[46:47], s[16:17], v[0:1]
	v_add_f64 v[73:74], v[36:37], -v[32:33]
	v_fma_f64 v[42:43], v[75:76], s[16:17], v[38:39]
	v_fma_f64 v[34:35], v[75:76], s[14:15], v[34:35]
	v_fma_f64 v[38:39], v[75:76], s[8:9], v[38:39]
	v_fma_f64 v[0:1], v[46:47], s[8:9], v[0:1]
	v_fma_f64 v[75:76], v[50:51], s[8:9], v[40:41]
	v_add_f64 v[28:29], v[28:29], -v[48:49]
	v_add_f64 v[48:49], v[32:33], -v[36:37]
	v_fma_f64 v[40:41], v[50:51], s[16:17], v[40:41]
	v_add_f64 v[32:33], v[52:53], v[32:33]
	v_fma_f64 v[52:53], v[50:51], s[14:15], v[54:55]
	v_add_f64 v[54:55], v[69:70], v[73:74]
	v_fma_f64 v[42:43], v[71:72], s[4:5], v[42:43]
	v_fma_f64 v[0:1], v[50:51], s[4:5], v[0:1]
	v_fma_f64 v[50:51], v[46:47], s[14:15], v[75:76]
	v_add_f64 v[48:49], v[28:29], v[48:49]
	v_fma_f64 v[71:72], v[71:72], s[14:15], v[38:39]
	v_fma_f64 v[46:47], v[46:47], s[4:5], v[40:41]
	v_add_f64 v[28:29], v[32:33], v[36:37]
	v_fma_f64 v[32:33], v[54:55], s[6:7], v[52:53]
	v_fma_f64 v[38:39], v[44:45], s[6:7], v[42:43]
	;; [unrolled: 1-line block ×7, first 2 shown]
	ds_write_b128 v67, v[3:6]
	ds_write_b128 v67, v[7:10] offset:5600
	ds_write_b128 v67, v[18:21] offset:11200
	;; [unrolled: 1-line block ×4, first 2 shown]
	ds_write_b128 v68, v[26:29]
	ds_write_b128 v68, v[30:33] offset:5600
	ds_write_b128 v68, v[38:41] offset:11200
	;; [unrolled: 1-line block ×4, first 2 shown]
	s_waitcnt lgkmcnt(0)
	s_barrier
	ds_read_b128 v[4:7], v67
	s_add_u32 s6, s12, 0x6d40
	s_addc_u32 s7, s13, 0
	v_sub_u32_e32 v14, 0, v61
                                        ; implicit-def: $vgpr0_vgpr1
                                        ; implicit-def: $vgpr8_vgpr9
                                        ; implicit-def: $vgpr10_vgpr11
	s_and_saveexec_b64 s[4:5], vcc
	s_xor_b64 s[4:5], exec, s[4:5]
	s_cbranch_execz .LBB0_19
; %bb.18:
	v_mov_b32_e32 v61, v2
	v_lshlrev_b64 v[0:1], 4, v[60:61]
	v_mov_b32_e32 v2, s7
	v_add_co_u32_e32 v0, vcc, s6, v0
	v_addc_co_u32_e32 v1, vcc, v2, v1, vcc
	global_load_dwordx4 v[15:18], v[0:1], off
	ds_read_b128 v[0:3], v14 offset:28000
	s_waitcnt lgkmcnt(0)
	v_add_f64 v[8:9], v[4:5], -v[0:1]
	v_add_f64 v[10:11], v[6:7], v[2:3]
	v_add_f64 v[2:3], v[6:7], -v[2:3]
	v_add_f64 v[0:1], v[4:5], v[0:1]
	v_mul_f64 v[6:7], v[8:9], 0.5
	v_mul_f64 v[4:5], v[10:11], 0.5
	;; [unrolled: 1-line block ×3, first 2 shown]
	s_waitcnt vmcnt(0)
	v_mul_f64 v[8:9], v[6:7], v[17:18]
	v_fma_f64 v[10:11], v[4:5], v[17:18], v[2:3]
	v_fma_f64 v[2:3], v[4:5], v[17:18], -v[2:3]
	v_fma_f64 v[19:20], v[0:1], 0.5, v[8:9]
	v_fma_f64 v[0:1], v[0:1], 0.5, -v[8:9]
	v_fma_f64 v[10:11], -v[15:16], v[6:7], v[10:11]
	v_fma_f64 v[2:3], -v[15:16], v[6:7], v[2:3]
	v_fma_f64 v[8:9], v[4:5], v[15:16], v[19:20]
	v_fma_f64 v[0:1], -v[4:5], v[15:16], v[0:1]
                                        ; implicit-def: $vgpr4_vgpr5
.LBB0_19:
	s_andn2_saveexec_b64 s[4:5], s[4:5]
	s_cbranch_execz .LBB0_21
; %bb.20:
	s_waitcnt lgkmcnt(0)
	v_add_f64 v[8:9], v[4:5], v[6:7]
	v_add_f64 v[0:1], v[4:5], -v[6:7]
	v_mov_b32_e32 v4, 0
	ds_read_b64 v[2:3], v4 offset:14008
	v_mov_b32_e32 v10, 0
	v_mov_b32_e32 v11, 0
	s_waitcnt lgkmcnt(0)
	v_xor_b32_e32 v3, 0x80000000, v3
	ds_write_b64 v4, v[2:3] offset:14008
	v_mov_b32_e32 v2, v10
	v_mov_b32_e32 v3, v11
.LBB0_21:
	s_or_b64 exec, exec, s[4:5]
	v_mov_b32_e32 v63, 0
	s_waitcnt lgkmcnt(0)
	v_lshlrev_b64 v[4:5], 4, v[62:63]
	v_mov_b32_e32 v6, s7
	v_add_co_u32_e32 v4, vcc, s6, v4
	v_addc_co_u32_e32 v5, vcc, v6, v5, vcc
	global_load_dwordx4 v[4:7], v[4:5], off
	v_mov_b32_e32 v66, v63
	v_lshlrev_b64 v[15:16], 4, v[65:66]
	v_mov_b32_e32 v17, s7
	v_add_co_u32_e32 v15, vcc, s6, v15
	v_addc_co_u32_e32 v16, vcc, v17, v16, vcc
	global_load_dwordx4 v[15:18], v[15:16], off
	ds_write2_b64 v67, v[8:9], v[10:11] offset1:1
	ds_write_b128 v14, v[0:3] offset:28000
	ds_read_b128 v[0:3], v68
	ds_read_b128 v[8:11], v14 offset:25200
	v_add_u32_e32 v62, 0x20d, v60
	v_mov_b32_e32 v27, s7
	v_mov_b32_e32 v65, v63
	s_waitcnt lgkmcnt(0)
	v_add_f64 v[19:20], v[0:1], -v[8:9]
	v_add_f64 v[21:22], v[2:3], v[10:11]
	v_add_f64 v[2:3], v[2:3], -v[10:11]
	v_add_f64 v[0:1], v[0:1], v[8:9]
	v_mul_f64 v[10:11], v[19:20], 0.5
	v_mul_f64 v[19:20], v[21:22], 0.5
	;; [unrolled: 1-line block ×3, first 2 shown]
	v_lshlrev_b64 v[21:22], 4, v[62:63]
	s_waitcnt vmcnt(1)
	v_mul_f64 v[8:9], v[10:11], v[6:7]
	v_fma_f64 v[23:24], v[19:20], v[6:7], v[2:3]
	v_fma_f64 v[6:7], v[19:20], v[6:7], -v[2:3]
	v_fma_f64 v[25:26], v[0:1], 0.5, v[8:9]
	v_fma_f64 v[8:9], v[0:1], 0.5, -v[8:9]
	v_add_co_u32_e32 v0, vcc, s6, v21
	v_addc_co_u32_e32 v1, vcc, v27, v22, vcc
	global_load_dwordx4 v[0:3], v[0:1], off
	v_fma_f64 v[21:22], -v[4:5], v[10:11], v[23:24]
	v_fma_f64 v[6:7], -v[4:5], v[10:11], v[6:7]
	v_fma_f64 v[10:11], v[19:20], v[4:5], v[25:26]
	v_fma_f64 v[4:5], -v[19:20], v[4:5], v[8:9]
	ds_write_b64 v68, v[21:22] offset:8
	ds_write_b64 v14, v[6:7] offset:25208
	ds_write_b64 v68, v[10:11]
	ds_write_b64 v14, v[4:5] offset:25200
	ds_read_b128 v[4:7], v13
	ds_read_b128 v[8:11], v14 offset:22400
	s_waitcnt lgkmcnt(0)
	v_add_f64 v[19:20], v[4:5], -v[8:9]
	v_add_f64 v[21:22], v[6:7], v[10:11]
	v_add_f64 v[6:7], v[6:7], -v[10:11]
	v_add_f64 v[4:5], v[4:5], v[8:9]
	v_mul_f64 v[10:11], v[19:20], 0.5
	v_mul_f64 v[19:20], v[21:22], 0.5
	;; [unrolled: 1-line block ×3, first 2 shown]
	v_lshlrev_b64 v[21:22], 4, v[64:65]
	s_waitcnt vmcnt(1)
	v_mul_f64 v[8:9], v[10:11], v[17:18]
	v_fma_f64 v[23:24], v[19:20], v[17:18], v[6:7]
	v_fma_f64 v[17:18], v[19:20], v[17:18], -v[6:7]
	v_fma_f64 v[25:26], v[4:5], 0.5, v[8:9]
	v_fma_f64 v[8:9], v[4:5], 0.5, -v[8:9]
	v_add_co_u32_e32 v4, vcc, s6, v21
	v_addc_co_u32_e32 v5, vcc, v27, v22, vcc
	global_load_dwordx4 v[4:7], v[4:5], off
	v_fma_f64 v[21:22], -v[15:16], v[10:11], v[23:24]
	v_fma_f64 v[10:11], -v[15:16], v[10:11], v[17:18]
	v_fma_f64 v[17:18], v[19:20], v[15:16], v[25:26]
	v_fma_f64 v[8:9], -v[19:20], v[15:16], v[8:9]
	ds_write_b64 v13, v[21:22] offset:8
	ds_write_b64 v14, v[10:11] offset:22408
	ds_write_b64 v13, v[17:18]
	ds_write_b64 v14, v[8:9] offset:22400
	ds_read_b128 v[8:11], v67 offset:8400
	ds_read_b128 v[15:18], v14 offset:19600
	s_waitcnt lgkmcnt(0)
	v_add_f64 v[19:20], v[8:9], -v[15:16]
	v_add_f64 v[21:22], v[10:11], v[17:18]
	v_add_f64 v[10:11], v[10:11], -v[17:18]
	v_add_f64 v[8:9], v[8:9], v[15:16]
	v_mul_f64 v[17:18], v[19:20], 0.5
	v_mul_f64 v[19:20], v[21:22], 0.5
	;; [unrolled: 1-line block ×3, first 2 shown]
	s_waitcnt vmcnt(1)
	v_mul_f64 v[15:16], v[17:18], v[2:3]
	v_fma_f64 v[21:22], v[19:20], v[2:3], v[10:11]
	v_fma_f64 v[2:3], v[19:20], v[2:3], -v[10:11]
	v_fma_f64 v[10:11], v[8:9], 0.5, v[15:16]
	v_fma_f64 v[8:9], v[8:9], 0.5, -v[15:16]
	v_fma_f64 v[15:16], -v[0:1], v[17:18], v[21:22]
	v_fma_f64 v[2:3], -v[0:1], v[17:18], v[2:3]
	v_fma_f64 v[10:11], v[19:20], v[0:1], v[10:11]
	v_fma_f64 v[0:1], -v[19:20], v[0:1], v[8:9]
	v_add_u32_e32 v8, 0x2000, v67
	ds_write2_b64 v8, v[10:11], v[15:16] offset0:26 offset1:27
	ds_write_b128 v14, v[0:3] offset:19600
	ds_read_b128 v[0:3], v12
	ds_read_b128 v[8:11], v14 offset:16800
	s_waitcnt lgkmcnt(0)
	v_add_f64 v[15:16], v[0:1], -v[8:9]
	v_add_f64 v[17:18], v[2:3], v[10:11]
	v_add_f64 v[2:3], v[2:3], -v[10:11]
	v_add_f64 v[0:1], v[0:1], v[8:9]
	v_mul_f64 v[10:11], v[15:16], 0.5
	v_mul_f64 v[15:16], v[17:18], 0.5
	;; [unrolled: 1-line block ×3, first 2 shown]
	s_waitcnt vmcnt(0)
	v_mul_f64 v[8:9], v[10:11], v[6:7]
	v_fma_f64 v[17:18], v[15:16], v[6:7], v[2:3]
	v_fma_f64 v[2:3], v[15:16], v[6:7], -v[2:3]
	v_fma_f64 v[6:7], v[0:1], 0.5, v[8:9]
	v_fma_f64 v[0:1], v[0:1], 0.5, -v[8:9]
	v_fma_f64 v[8:9], -v[4:5], v[10:11], v[17:18]
	v_fma_f64 v[2:3], -v[4:5], v[10:11], v[2:3]
	v_fma_f64 v[6:7], v[15:16], v[4:5], v[6:7]
	v_fma_f64 v[0:1], -v[15:16], v[4:5], v[0:1]
	ds_write_b64 v12, v[8:9] offset:8
	ds_write_b64 v14, v[2:3] offset:16808
	ds_write_b64 v12, v[6:7]
	ds_write_b64 v14, v[0:1] offset:16800
	s_waitcnt lgkmcnt(0)
	s_barrier
	s_and_saveexec_b64 s[4:5], s[0:1]
	s_cbranch_execz .LBB0_24
; %bb.22:
	v_mul_lo_u32 v2, s3, v58
	v_mul_lo_u32 v3, s2, v59
	v_mad_u64_u32 v[0:1], s[0:1], s2, v58, 0
	v_mov_b32_e32 v6, s11
	v_lshl_add_u32 v12, v60, 4, 0
	v_add3_u32 v1, v1, v3, v2
	v_lshlrev_b64 v[0:1], 4, v[0:1]
	v_mov_b32_e32 v61, v63
	v_add_co_u32_e32 v0, vcc, s10, v0
	v_addc_co_u32_e32 v8, vcc, v6, v1, vcc
	v_lshlrev_b64 v[6:7], 4, v[56:57]
	ds_read_b128 v[2:5], v12
	v_add_co_u32_e32 v1, vcc, v0, v6
	v_addc_co_u32_e32 v0, vcc, v8, v7, vcc
	v_lshlrev_b64 v[6:7], 4, v[60:61]
	v_add_u32_e32 v62, 0xaf, v60
	v_add_co_u32_e32 v10, vcc, v1, v6
	v_addc_co_u32_e32 v11, vcc, v0, v7, vcc
	ds_read_b128 v[6:9], v12 offset:2800
	s_waitcnt lgkmcnt(1)
	global_store_dwordx4 v[10:11], v[2:5], off
	s_movk_i32 s0, 0xae
	v_lshlrev_b64 v[2:3], 4, v[62:63]
	v_add_u32_e32 v62, 0x15e, v60
	v_add_co_u32_e32 v2, vcc, v1, v2
	v_addc_co_u32_e32 v3, vcc, v0, v3, vcc
	s_waitcnt lgkmcnt(0)
	global_store_dwordx4 v[2:3], v[6:9], off
	ds_read_b128 v[2:5], v12 offset:5600
	v_lshlrev_b64 v[6:7], 4, v[62:63]
	v_add_u32_e32 v62, 0x20d, v60
	v_add_co_u32_e32 v10, vcc, v1, v6
	v_addc_co_u32_e32 v11, vcc, v0, v7, vcc
	ds_read_b128 v[6:9], v12 offset:8400
	s_waitcnt lgkmcnt(1)
	global_store_dwordx4 v[10:11], v[2:5], off
	s_nop 0
	v_lshlrev_b64 v[2:3], 4, v[62:63]
	v_add_u32_e32 v62, 0x2bc, v60
	v_add_co_u32_e32 v2, vcc, v1, v2
	v_addc_co_u32_e32 v3, vcc, v0, v3, vcc
	s_waitcnt lgkmcnt(0)
	global_store_dwordx4 v[2:3], v[6:9], off
	ds_read_b128 v[2:5], v12 offset:11200
	v_lshlrev_b64 v[6:7], 4, v[62:63]
	v_add_u32_e32 v62, 0x36b, v60
	v_add_co_u32_e32 v10, vcc, v1, v6
	v_addc_co_u32_e32 v11, vcc, v0, v7, vcc
	ds_read_b128 v[6:9], v12 offset:14000
	s_waitcnt lgkmcnt(1)
	global_store_dwordx4 v[10:11], v[2:5], off
	s_nop 0
	;; [unrolled: 15-line block ×4, first 2 shown]
	v_lshlrev_b64 v[2:3], 4, v[62:63]
	v_add_co_u32_e32 v2, vcc, v1, v2
	v_addc_co_u32_e32 v3, vcc, v0, v3, vcc
	v_cmp_eq_u32_e32 vcc, s0, v60
	s_waitcnt lgkmcnt(0)
	global_store_dwordx4 v[2:3], v[6:9], off
	s_and_b64 exec, exec, vcc
	s_cbranch_execz .LBB0_24
; %bb.23:
	v_mov_b32_e32 v2, 0
	ds_read_b128 v[2:5], v2 offset:28000
	v_add_co_u32_e32 v6, vcc, 0x6000, v1
	v_addc_co_u32_e32 v7, vcc, 0, v0, vcc
	s_waitcnt lgkmcnt(0)
	global_store_dwordx4 v[6:7], v[2:5], off offset:3424
.LBB0_24:
	s_endpgm
	.section	.rodata,"a",@progbits
	.p2align	6, 0x0
	.amdhsa_kernel fft_rtc_fwd_len1750_factors_2_5_5_7_5_wgs_175_tpt_175_halfLds_dp_op_CI_CI_unitstride_sbrr_R2C_dirReg
		.amdhsa_group_segment_fixed_size 0
		.amdhsa_private_segment_fixed_size 0
		.amdhsa_kernarg_size 104
		.amdhsa_user_sgpr_count 6
		.amdhsa_user_sgpr_private_segment_buffer 1
		.amdhsa_user_sgpr_dispatch_ptr 0
		.amdhsa_user_sgpr_queue_ptr 0
		.amdhsa_user_sgpr_kernarg_segment_ptr 1
		.amdhsa_user_sgpr_dispatch_id 0
		.amdhsa_user_sgpr_flat_scratch_init 0
		.amdhsa_user_sgpr_private_segment_size 0
		.amdhsa_uses_dynamic_stack 0
		.amdhsa_system_sgpr_private_segment_wavefront_offset 0
		.amdhsa_system_sgpr_workgroup_id_x 1
		.amdhsa_system_sgpr_workgroup_id_y 0
		.amdhsa_system_sgpr_workgroup_id_z 0
		.amdhsa_system_sgpr_workgroup_info 0
		.amdhsa_system_vgpr_workitem_id 0
		.amdhsa_next_free_vgpr 110
		.amdhsa_next_free_sgpr 30
		.amdhsa_reserve_vcc 1
		.amdhsa_reserve_flat_scratch 0
		.amdhsa_float_round_mode_32 0
		.amdhsa_float_round_mode_16_64 0
		.amdhsa_float_denorm_mode_32 3
		.amdhsa_float_denorm_mode_16_64 3
		.amdhsa_dx10_clamp 1
		.amdhsa_ieee_mode 1
		.amdhsa_fp16_overflow 0
		.amdhsa_exception_fp_ieee_invalid_op 0
		.amdhsa_exception_fp_denorm_src 0
		.amdhsa_exception_fp_ieee_div_zero 0
		.amdhsa_exception_fp_ieee_overflow 0
		.amdhsa_exception_fp_ieee_underflow 0
		.amdhsa_exception_fp_ieee_inexact 0
		.amdhsa_exception_int_div_zero 0
	.end_amdhsa_kernel
	.text
.Lfunc_end0:
	.size	fft_rtc_fwd_len1750_factors_2_5_5_7_5_wgs_175_tpt_175_halfLds_dp_op_CI_CI_unitstride_sbrr_R2C_dirReg, .Lfunc_end0-fft_rtc_fwd_len1750_factors_2_5_5_7_5_wgs_175_tpt_175_halfLds_dp_op_CI_CI_unitstride_sbrr_R2C_dirReg
                                        ; -- End function
	.section	.AMDGPU.csdata,"",@progbits
; Kernel info:
; codeLenInByte = 10792
; NumSgprs: 34
; NumVgprs: 110
; ScratchSize: 0
; MemoryBound: 0
; FloatMode: 240
; IeeeMode: 1
; LDSByteSize: 0 bytes/workgroup (compile time only)
; SGPRBlocks: 4
; VGPRBlocks: 27
; NumSGPRsForWavesPerEU: 34
; NumVGPRsForWavesPerEU: 110
; Occupancy: 2
; WaveLimiterHint : 1
; COMPUTE_PGM_RSRC2:SCRATCH_EN: 0
; COMPUTE_PGM_RSRC2:USER_SGPR: 6
; COMPUTE_PGM_RSRC2:TRAP_HANDLER: 0
; COMPUTE_PGM_RSRC2:TGID_X_EN: 1
; COMPUTE_PGM_RSRC2:TGID_Y_EN: 0
; COMPUTE_PGM_RSRC2:TGID_Z_EN: 0
; COMPUTE_PGM_RSRC2:TIDIG_COMP_CNT: 0
	.type	__hip_cuid_21603e598a6020b,@object ; @__hip_cuid_21603e598a6020b
	.section	.bss,"aw",@nobits
	.globl	__hip_cuid_21603e598a6020b
__hip_cuid_21603e598a6020b:
	.byte	0                               ; 0x0
	.size	__hip_cuid_21603e598a6020b, 1

	.ident	"AMD clang version 19.0.0git (https://github.com/RadeonOpenCompute/llvm-project roc-6.4.0 25133 c7fe45cf4b819c5991fe208aaa96edf142730f1d)"
	.section	".note.GNU-stack","",@progbits
	.addrsig
	.addrsig_sym __hip_cuid_21603e598a6020b
	.amdgpu_metadata
---
amdhsa.kernels:
  - .args:
      - .actual_access:  read_only
        .address_space:  global
        .offset:         0
        .size:           8
        .value_kind:     global_buffer
      - .offset:         8
        .size:           8
        .value_kind:     by_value
      - .actual_access:  read_only
        .address_space:  global
        .offset:         16
        .size:           8
        .value_kind:     global_buffer
      - .actual_access:  read_only
        .address_space:  global
        .offset:         24
        .size:           8
        .value_kind:     global_buffer
      - .actual_access:  read_only
        .address_space:  global
        .offset:         32
        .size:           8
        .value_kind:     global_buffer
      - .offset:         40
        .size:           8
        .value_kind:     by_value
      - .actual_access:  read_only
        .address_space:  global
        .offset:         48
        .size:           8
        .value_kind:     global_buffer
      - .actual_access:  read_only
        .address_space:  global
        .offset:         56
        .size:           8
        .value_kind:     global_buffer
      - .offset:         64
        .size:           4
        .value_kind:     by_value
      - .actual_access:  read_only
        .address_space:  global
        .offset:         72
        .size:           8
        .value_kind:     global_buffer
      - .actual_access:  read_only
        .address_space:  global
        .offset:         80
        .size:           8
        .value_kind:     global_buffer
      - .actual_access:  read_only
        .address_space:  global
        .offset:         88
        .size:           8
        .value_kind:     global_buffer
      - .actual_access:  write_only
        .address_space:  global
        .offset:         96
        .size:           8
        .value_kind:     global_buffer
    .group_segment_fixed_size: 0
    .kernarg_segment_align: 8
    .kernarg_segment_size: 104
    .language:       OpenCL C
    .language_version:
      - 2
      - 0
    .max_flat_workgroup_size: 175
    .name:           fft_rtc_fwd_len1750_factors_2_5_5_7_5_wgs_175_tpt_175_halfLds_dp_op_CI_CI_unitstride_sbrr_R2C_dirReg
    .private_segment_fixed_size: 0
    .sgpr_count:     34
    .sgpr_spill_count: 0
    .symbol:         fft_rtc_fwd_len1750_factors_2_5_5_7_5_wgs_175_tpt_175_halfLds_dp_op_CI_CI_unitstride_sbrr_R2C_dirReg.kd
    .uniform_work_group_size: 1
    .uses_dynamic_stack: false
    .vgpr_count:     110
    .vgpr_spill_count: 0
    .wavefront_size: 64
amdhsa.target:   amdgcn-amd-amdhsa--gfx906
amdhsa.version:
  - 1
  - 2
...

	.end_amdgpu_metadata
